;; amdgpu-corpus repo=ROCm/aiter kind=harvested arch=n/a opt=n/a

/root/src/amdgpu-assembly/repos/ROCm__aiter/hsa/gfx942/fmha_v3_bwd/bwd_hd64_odo_bf16.co:	file format elf64-amdgpu

Disassembly of section .text:

0000000000002400 <_ZN5aiter22fmha_bwd_hd64_odo_bf16E>:
	s_and_b32 s1, s1, 0xffff                                   // 000000002400: 8601FF01 0000FFFF
	s_load_dwordx2 s[12:13], s[0:1], 0x0                       // 000000002408: C0060300 00000000
	s_load_dwordx2 s[20:21], s[0:1], 0x10                      // 000000002410: C0060500 00000010
	s_load_dwordx2 s[16:17], s[0:1], 0x20                      // 000000002418: C0060400 00000020
	s_load_dword s6, s[0:1], 0x30                              // 000000002420: C0020180 00000030
	s_load_dword s8, s[0:1], 0x50                              // 000000002428: C0020200 00000050
	s_load_dword s50, s[0:1], 0x60                             // 000000002430: C0020C80 00000060
	s_load_dword s52, s[0:1], 0x80                             // 000000002438: C0020D00 00000080
	s_load_dword s9, s[0:1], 0x90                              // 000000002440: C0020240 00000090
	s_load_dword s11, s[0:1], 0xb0                             // 000000002448: C00202C0 000000B0
	s_load_dword s37, s[0:1], 0xd0                             // 000000002450: C0020940 000000D0
	s_load_dword s7, s[0:1], 0x40                              // 000000002458: C00201C0 00000040
	s_load_dword s51, s[0:1], 0x70                             // 000000002460: C0020CC0 00000070
	s_load_dword s10, s[0:1], 0xa0                             // 000000002468: C0020280 000000A0
	s_load_dword s39, s[0:1], 0xc0                             // 000000002470: C00209C0 000000C0
	v_lshrrev_b32_e32 v1, 10, v0                               // 000000002478: 2002008A
	v_lshrrev_b32_e32 v2, 10, v1                               // 00000000247C: 2004028A
	v_and_b32_e32 v2, 0x3ff, v2                                // 000000002480: 260404FF 000003FF
	v_and_b32_e32 v1, 0x3ff, v1                                // 000000002488: 260202FF 000003FF
	v_and_b32_e32 v0, 0x3ff, v0                                // 000000002490: 260000FF 000003FF
	v_lshrrev_b32_e32 v3, 6, v0                                // 000000002498: 20060086
	v_and_b32_e32 v0, 63, v0                                   // 00000000249C: 260000BF
	s_mov_b32 s2, s2                                           // 0000000024A0: BE820002
	s_mov_b32 s3, s3                                           // 0000000024A4: BE830003
	s_mov_b32 s4, s4                                           // 0000000024A8: BE840004
	v_readfirstlane_b32 s30, v3                                // 0000000024AC: 7E3C0503
	s_waitcnt lgkmcnt(0)                                       // 0000000024B0: BF8CC07F
	s_mov_b32 s15, 0x20000                                     // 0000000024B4: BE8F00FF 00020000
	s_mov_b32 s19, 0x20000                                     // 0000000024BC: BE9300FF 00020000
	s_mov_b32 s23, 0x20000                                     // 0000000024C4: BE9700FF 00020000
	s_and_b32 s13, s13, 0xffff                                 // 0000000024CC: 860DFF0D 0000FFFF
	s_and_b32 s17, s17, 0xffff                                 // 0000000024D4: 8611FF11 0000FFFF
	s_and_b32 s21, s21, 0xffff                                 // 0000000024DC: 8615FF15 0000FFFF
	s_or_b32 s13, s13, 0x40000                                 // 0000000024E4: 870DFF0D 00040000
	s_or_b32 s17, s17, 0x40000                                 // 0000000024EC: 8711FF11 00040000
	s_or_b32 s21, s21, 0x40000                                 // 0000000024F4: 8715FF15 00040000
	v_mov_b32_e32 v31, 0                                       // 0000000024FC: 7E3E0280
	s_mov_b32 s24, s12                                         // 000000002500: BE98000C
	s_mov_b32 s25, s13                                         // 000000002504: BE99000D
	s_mov_b32 s26, s16                                         // 000000002508: BE9A0010
	s_mov_b32 s27, s17                                         // 00000000250C: BE9B0011
	s_mov_b32 s28, s20                                         // 000000002510: BE9C0014
	s_mov_b32 s29, s21                                         // 000000002514: BE9D0015
	s_mul_i32 s31, s8, 0x80                                    // 000000002518: 921FFF08 00000080
	s_mul_i32 s31, s2, s31                                     // 000000002520: 921F1F02
	s_mul_i32 s32, s3, s6                                      // 000000002524: 92200603
	s_mul_i32 s33, s4, s7                                      // 000000002528: 92210704
	s_add_u32 s34, s31, s32                                    // 00000000252C: 8022201F
	s_add_u32 s34, s34, s33                                    // 000000002530: 80222122
	s_mul_i32 s32, s39, s8                                     // 000000002534: 92200827
	s_sub_i32 s32, s32, s31                                    // 000000002538: 81A01F20
	s_mov_b32 s14, s32                                         // 00000000253C: BE8E0020
	s_add_u32 s12, s34, s24                                    // 000000002540: 800C1822
	s_addc_u32 s13, 0, s25                                     // 000000002544: 820D1980
	s_mul_i32 s31, s52, 0x80                                   // 000000002548: 921FFF34 00000080
	s_mul_i32 s31, s2, s31                                     // 000000002550: 921F1F02
	s_mul_i32 s32, s3, s50                                     // 000000002554: 92203203
	s_mul_i32 s33, s4, s51                                     // 000000002558: 92213304
	s_add_u32 s53, s31, s32                                    // 00000000255C: 8035201F
	s_add_u32 s53, s53, s33                                    // 000000002560: 80352135
	s_mul_i32 s32, s39, s52                                    // 000000002564: 92203427
	s_sub_i32 s32, s32, s31                                    // 000000002568: 81A01F20
	s_mov_b32 s22, s32                                         // 00000000256C: BE960020
	s_add_u32 s20, s53, s28                                    // 000000002570: 80141C35
	s_addc_u32 s21, 0, s29                                     // 000000002574: 82151D80
	s_mul_i32 s31, s11, 0x80                                   // 000000002578: 921FFF0B 00000080
	s_mul_i32 s31, s2, s31                                     // 000000002580: 921F1F02
	s_mul_i32 s32, s3, s9                                      // 000000002584: 92200903
	s_mul_i32 s33, s4, s10                                     // 000000002588: 92210A04
	s_add_u32 s35, s31, s32                                    // 00000000258C: 8023201F
	s_add_u32 s35, s35, s33                                    // 000000002590: 80232123
	s_mul_i32 s32, s39, s11                                    // 000000002594: 92200B27
	s_sub_i32 s32, s32, s31                                    // 000000002598: 81A01F20
	s_mov_b32 s18, s32                                         // 00000000259C: BE920020
	s_add_u32 s16, s35, s26                                    // 0000000025A0: 80101A23
	s_addc_u32 s17, 0, s27                                     // 0000000025A4: 82111B80
	v_readfirstlane_b32 s30, v3                                // 0000000025A8: 7E3C0503
	v_lshrrev_b32_e32 v20, 3, v0                               // 0000000025AC: 20280083
	v_mul_i32_i24_e32 v20, s8, v20                             // 0000000025B0: 0C282808
	v_and_b32_e32 v21, 7, v0                                   // 0000000025B4: 262A0087
	v_mul_i32_i24_e32 v21, 16, v21                             // 0000000025B8: 0C2A2A90
	v_add_u32_e32 v21, v20, v21                                // 0000000025BC: 682A2B14
	v_mov_b32_e32 v4, v21                                      // 0000000025C0: 7E080315
	s_mul_i32 s31, 32, s8                                      // 0000000025C4: 921F08A0
	s_mul_i32 s31, s30, s31                                    // 0000000025C8: 921F1F1E
	v_add_u32_e32 v4, s31, v4                                  // 0000000025CC: 6808081F
	v_lshrrev_b32_e32 v20, 3, v0                               // 0000000025D0: 20280083
	v_mul_i32_i24_e32 v20, s52, v20                            // 0000000025D4: 0C282834
	v_and_b32_e32 v21, 7, v0                                   // 0000000025D8: 262A0087
	v_mul_i32_i24_e32 v21, 16, v21                             // 0000000025DC: 0C2A2A90
	v_add_u32_e32 v21, v20, v21                                // 0000000025E0: 682A2B14
	v_mov_b32_e32 v29, v21                                     // 0000000025E4: 7E3A0315
	s_mul_i32 s31, 32, s52                                     // 0000000025E8: 921F34A0
	s_mul_i32 s31, s30, s31                                    // 0000000025EC: 921F1F1E
	v_add_u32_e32 v29, s31, v29                                // 0000000025F0: 683A3A1F
	v_lshrrev_b32_e32 v5, 3, v0                                // 0000000025F4: 200A0083
	v_mul_i32_i24_e32 v5, s11, v5                              // 0000000025F8: 0C0A0A0B
	v_and_b32_e32 v20, 7, v0                                   // 0000000025FC: 26280087
	v_lshrrev_b32_e32 v20, 1, v20                              // 000000002600: 20282881
	v_lshlrev_b32_e32 v20, 5, v20                              // 000000002604: 24282885
	v_add_u32_e32 v5, v5, v20                                  // 000000002608: 680A2905
	s_mul_i32 s31, 32, s11                                     // 00000000260C: 921F0BA0
	s_mul_i32 s31, s30, s31                                    // 000000002610: 921F1F1E
	v_add_u32_e32 v5, s31, v5                                  // 000000002614: 680A0A1F
	v_and_b32_e32 v20, 7, v0                                   // 000000002618: 26280087
	v_lshlrev_b32_e32 v20, 3, v20                              // 00000000261C: 24282883
	s_sub_i32 s31, s37, 0                                      // 000000002620: 819F8025
	v_cmp_lt_u32_e64 s[36:37], v20, s31                        // 000000002624: D0C90024 00003F14
	v_and_b32_e32 v20, 1, v0                                   // 00000000262C: 26280081
	v_cmp_eq_u32_e64 s[38:39], v20, 0                          // 000000002630: D0CA0026 00010114
	v_lshlrev_b32_e32 v16, 2, v0                               // 000000002638: 24200082
	s_lshl_b32 s31, s30, 8                                     // 00000000263C: 8E1F881E
	v_add_u32_e32 v16, s31, v16                                // 000000002640: 6820201F
	v_lshrrev_b32_e32 v18, 3, v0                               // 000000002644: 20240083
	v_mul_i32_i24_e32 v18, 32, v18                             // 000000002648: 0C2424A0
	v_add_u32_e32 v18, s31, v18                                // 00000000264C: 6824241F
	v_add_u32_e32 v19, 16, v18                                 // 000000002650: 68262490
	v_mov_b32_e32 v14, 0                                       // 000000002654: 7E1C0280
	s_mul_i32 s31, s8, 0                                       // 000000002658: 921F8008
	s_lshl_b32 s31, s31, 3                                     // 00000000265C: 8E1F831F
	v_add_u32_e32 v15, s31, v4                                 // 000000002660: 681E081F
	s_mul_i32 s31, s52, 0                                      // 000000002664: 921F8034
	s_lshl_b32 s31, s31, 3                                     // 000000002668: 8E1F831F
	v_add_u32_e32 v30, s31, v29                                // 00000000266C: 683C3A1F
	v_and_b32_e32 v28, 7, v0                                   // 000000002670: 26380087
	v_cmp_eq_u32_e64 s[48:49], v28, 0                          // 000000002674: D0CA0030 0001011C
	v_mov_b32_e32 v10, 0                                       // 00000000267C: 7E140280
	v_mov_b32_e32 v6, 0                                        // 000000002680: 7E0C0280
	v_mov_b32_e32 v11, 0                                       // 000000002684: 7E160280
	v_mov_b32_e32 v7, 0                                        // 000000002688: 7E0E0280
	v_mov_b32_e32 v12, 0                                       // 00000000268C: 7E180280
	v_mov_b32_e32 v8, 0                                        // 000000002690: 7E100280
	v_mov_b32_e32 v13, 0                                       // 000000002694: 7E1A0280
	v_mov_b32_e32 v9, 0                                        // 000000002698: 7E120280
	s_mov_b64 exec, s[36:37]                                   // 00000000269C: BEFE0124
	buffer_load_dwordx4 v[10:13], v30, s[20:23], 0 offen       // 0000000026A0: E05C1000 80050A1E
	buffer_load_dwordx4 v[6:9], v15, s[12:15], 0 offen         // 0000000026A8: E05C1000 8003060F
	s_mov_b64 exec, -1                                         // 0000000026B0: BEFE01C1
	v_add_u32_e32 v15, 0x80, v15                               // 0000000026B4: 681E1EFF 00000080
	v_add_u32_e32 v30, 0x80, v30                               // 0000000026BC: 683C3CFF 00000080
	s_waitcnt vmcnt(0) expcnt(0) lgkmcnt(0)                    // 0000000026C4: BF8C0000
	s_barrier                                                  // 0000000026C8: BF8A0000
	v_mov_b32_e32 v24, 0                                       // 0000000026CC: 7E300280
	v_and_b32_e32 v20, 0xffff, v6                              // 0000000026D0: 26280CFF 0000FFFF
	v_lshrrev_b32_e32 v21, 16, v6                              // 0000000026D8: 202A0C90
	v_and_b32_e32 v22, 0xffff, v10                             // 0000000026DC: 262C14FF 0000FFFF
	v_lshrrev_b32_e32 v23, 16, v10                             // 0000000026E4: 202E1490
	v_lshlrev_b32_e32 v20, 16, v20                             // 0000000026E8: 24282890
	v_lshlrev_b32_e32 v22, 16, v22                             // 0000000026EC: 242C2C90
	v_lshlrev_b32_e32 v21, 16, v21                             // 0000000026F0: 242A2A90
	v_lshlrev_b32_e32 v23, 16, v23                             // 0000000026F4: 242E2E90
	v_fma_f32 v24, v20, v22, v24                               // 0000000026F8: D1CB0018 04622D14
	v_fma_f32 v24, v21, v23, v24                               // 000000002700: D1CB0018 04622F15
	v_and_b32_e32 v20, 0xffff, v7                              // 000000002708: 26280EFF 0000FFFF
	v_lshrrev_b32_e32 v21, 16, v7                              // 000000002710: 202A0E90
	v_and_b32_e32 v22, 0xffff, v11                             // 000000002714: 262C16FF 0000FFFF
	v_lshrrev_b32_e32 v23, 16, v11                             // 00000000271C: 202E1690
	v_lshlrev_b32_e32 v20, 16, v20                             // 000000002720: 24282890
	v_lshlrev_b32_e32 v22, 16, v22                             // 000000002724: 242C2C90
	v_lshlrev_b32_e32 v21, 16, v21                             // 000000002728: 242A2A90
	v_lshlrev_b32_e32 v23, 16, v23                             // 00000000272C: 242E2E90
	v_fma_f32 v24, v20, v22, v24                               // 000000002730: D1CB0018 04622D14
	v_fma_f32 v24, v21, v23, v24                               // 000000002738: D1CB0018 04622F15
	v_and_b32_e32 v20, 0xffff, v8                              // 000000002740: 262810FF 0000FFFF
	v_lshrrev_b32_e32 v21, 16, v8                              // 000000002748: 202A1090
	v_and_b32_e32 v22, 0xffff, v12                             // 00000000274C: 262C18FF 0000FFFF
	v_lshrrev_b32_e32 v23, 16, v12                             // 000000002754: 202E1890
	v_lshlrev_b32_e32 v20, 16, v20                             // 000000002758: 24282890
	v_lshlrev_b32_e32 v22, 16, v22                             // 00000000275C: 242C2C90
	v_lshlrev_b32_e32 v21, 16, v21                             // 000000002760: 242A2A90
	v_lshlrev_b32_e32 v23, 16, v23                             // 000000002764: 242E2E90
	v_fma_f32 v24, v20, v22, v24                               // 000000002768: D1CB0018 04622D14
	v_fma_f32 v24, v21, v23, v24                               // 000000002770: D1CB0018 04622F15
	v_and_b32_e32 v20, 0xffff, v9                              // 000000002778: 262812FF 0000FFFF
	v_lshrrev_b32_e32 v21, 16, v9                              // 000000002780: 202A1290
	v_and_b32_e32 v22, 0xffff, v13                             // 000000002784: 262C1AFF 0000FFFF
	v_lshrrev_b32_e32 v23, 16, v13                             // 00000000278C: 202E1A90
	v_lshlrev_b32_e32 v20, 16, v20                             // 000000002790: 24282890
	v_lshlrev_b32_e32 v22, 16, v22                             // 000000002794: 242C2C90
	v_lshlrev_b32_e32 v21, 16, v21                             // 000000002798: 242A2A90
	v_lshlrev_b32_e32 v23, 16, v23                             // 00000000279C: 242E2E90
	v_fma_f32 v24, v20, v22, v24                               // 0000000027A0: D1CB0018 04622D14
	v_fma_f32 v24, v21, v23, v24                               // 0000000027A8: D1CB0018 04622F15
	ds_write_b32 v16, v24                                      // 0000000027B0: D81A0000 00001810
	s_waitcnt lgkmcnt(0)                                       // 0000000027B8: BF8CC07F
	s_mov_b64 exec, s[48:49]                                   // 0000000027BC: BEFE0130
	ds_read_b128 v[20:23], v18                                 // 0000000027C0: D9FE0000 14000012
	s_waitcnt lgkmcnt(0)                                       // 0000000027C8: BF8CC07F
	ds_read_b128 v[24:27], v19                                 // 0000000027CC: D9FE0000 18000013
	s_waitcnt lgkmcnt(0)                                       // 0000000027D4: BF8CC07F
	v_add_f32_e32 v14, v20, v14                                // 0000000027D8: 021C1D14
	v_add_f32_e32 v14, v21, v14                                // 0000000027DC: 021C1D15
	v_add_f32_e32 v14, v22, v14                                // 0000000027E0: 021C1D16
	v_add_f32_e32 v14, v23, v14                                // 0000000027E4: 021C1D17
	v_add_f32_e32 v14, v24, v14                                // 0000000027E8: 021C1D18
	v_add_f32_e32 v14, v25, v14                                // 0000000027EC: 021C1D19
	v_add_f32_e32 v14, v26, v14                                // 0000000027F0: 021C1D1A
	v_add_f32_e32 v14, v27, v14                                // 0000000027F4: 021C1D1B
	s_mov_b64 exec, -1                                         // 0000000027F8: BEFE01C1
	s_mul_i32 s31, s8, 1                                       // 0000000027FC: 921F8108
	s_lshl_b32 s31, s31, 3                                     // 000000002800: 8E1F831F
	v_add_u32_e32 v15, s31, v4                                 // 000000002804: 681E081F
	s_mul_i32 s31, s52, 1                                      // 000000002808: 921F8134
	s_lshl_b32 s31, s31, 3                                     // 00000000280C: 8E1F831F
	v_add_u32_e32 v30, s31, v29                                // 000000002810: 683C3A1F
	v_and_b32_e32 v28, 7, v0                                   // 000000002814: 26380087
	v_cmp_eq_u32_e64 s[48:49], v28, 2                          // 000000002818: D0CA0030 0001051C
	v_mov_b32_e32 v10, 0                                       // 000000002820: 7E140280
	v_mov_b32_e32 v6, 0                                        // 000000002824: 7E0C0280
	v_mov_b32_e32 v11, 0                                       // 000000002828: 7E160280
	v_mov_b32_e32 v7, 0                                        // 00000000282C: 7E0E0280
	v_mov_b32_e32 v12, 0                                       // 000000002830: 7E180280
	v_mov_b32_e32 v8, 0                                        // 000000002834: 7E100280
	v_mov_b32_e32 v13, 0                                       // 000000002838: 7E1A0280
	v_mov_b32_e32 v9, 0                                        // 00000000283C: 7E120280
	s_mov_b64 exec, s[36:37]                                   // 000000002840: BEFE0124
	buffer_load_dwordx4 v[10:13], v30, s[20:23], 0 offen       // 000000002844: E05C1000 80050A1E
	buffer_load_dwordx4 v[6:9], v15, s[12:15], 0 offen         // 00000000284C: E05C1000 8003060F
	s_mov_b64 exec, -1                                         // 000000002854: BEFE01C1
	v_add_u32_e32 v15, 0x80, v15                               // 000000002858: 681E1EFF 00000080
	v_add_u32_e32 v30, 0x80, v30                               // 000000002860: 683C3CFF 00000080
	s_waitcnt vmcnt(0) expcnt(0) lgkmcnt(0)                    // 000000002868: BF8C0000
	s_barrier                                                  // 00000000286C: BF8A0000
	v_mov_b32_e32 v24, 0                                       // 000000002870: 7E300280
	v_and_b32_e32 v20, 0xffff, v6                              // 000000002874: 26280CFF 0000FFFF
	v_lshrrev_b32_e32 v21, 16, v6                              // 00000000287C: 202A0C90
	v_and_b32_e32 v22, 0xffff, v10                             // 000000002880: 262C14FF 0000FFFF
	v_lshrrev_b32_e32 v23, 16, v10                             // 000000002888: 202E1490
	v_lshlrev_b32_e32 v20, 16, v20                             // 00000000288C: 24282890
	v_lshlrev_b32_e32 v22, 16, v22                             // 000000002890: 242C2C90
	v_lshlrev_b32_e32 v21, 16, v21                             // 000000002894: 242A2A90
	v_lshlrev_b32_e32 v23, 16, v23                             // 000000002898: 242E2E90
	v_fma_f32 v24, v20, v22, v24                               // 00000000289C: D1CB0018 04622D14
	v_fma_f32 v24, v21, v23, v24                               // 0000000028A4: D1CB0018 04622F15
	v_and_b32_e32 v20, 0xffff, v7                              // 0000000028AC: 26280EFF 0000FFFF
	v_lshrrev_b32_e32 v21, 16, v7                              // 0000000028B4: 202A0E90
	v_and_b32_e32 v22, 0xffff, v11                             // 0000000028B8: 262C16FF 0000FFFF
	v_lshrrev_b32_e32 v23, 16, v11                             // 0000000028C0: 202E1690
	v_lshlrev_b32_e32 v20, 16, v20                             // 0000000028C4: 24282890
	v_lshlrev_b32_e32 v22, 16, v22                             // 0000000028C8: 242C2C90
	v_lshlrev_b32_e32 v21, 16, v21                             // 0000000028CC: 242A2A90
	v_lshlrev_b32_e32 v23, 16, v23                             // 0000000028D0: 242E2E90
	v_fma_f32 v24, v20, v22, v24                               // 0000000028D4: D1CB0018 04622D14
	v_fma_f32 v24, v21, v23, v24                               // 0000000028DC: D1CB0018 04622F15
	v_and_b32_e32 v20, 0xffff, v8                              // 0000000028E4: 262810FF 0000FFFF
	v_lshrrev_b32_e32 v21, 16, v8                              // 0000000028EC: 202A1090
	v_and_b32_e32 v22, 0xffff, v12                             // 0000000028F0: 262C18FF 0000FFFF
	v_lshrrev_b32_e32 v23, 16, v12                             // 0000000028F8: 202E1890
	v_lshlrev_b32_e32 v20, 16, v20                             // 0000000028FC: 24282890
	v_lshlrev_b32_e32 v22, 16, v22                             // 000000002900: 242C2C90
	v_lshlrev_b32_e32 v21, 16, v21                             // 000000002904: 242A2A90
	v_lshlrev_b32_e32 v23, 16, v23                             // 000000002908: 242E2E90
	v_fma_f32 v24, v20, v22, v24                               // 00000000290C: D1CB0018 04622D14
	v_fma_f32 v24, v21, v23, v24                               // 000000002914: D1CB0018 04622F15
	v_and_b32_e32 v20, 0xffff, v9                              // 00000000291C: 262812FF 0000FFFF
	v_lshrrev_b32_e32 v21, 16, v9                              // 000000002924: 202A1290
	v_and_b32_e32 v22, 0xffff, v13                             // 000000002928: 262C1AFF 0000FFFF
	v_lshrrev_b32_e32 v23, 16, v13                             // 000000002930: 202E1A90
	v_lshlrev_b32_e32 v20, 16, v20                             // 000000002934: 24282890
	v_lshlrev_b32_e32 v22, 16, v22                             // 000000002938: 242C2C90
	v_lshlrev_b32_e32 v21, 16, v21                             // 00000000293C: 242A2A90
	v_lshlrev_b32_e32 v23, 16, v23                             // 000000002940: 242E2E90
	v_fma_f32 v24, v20, v22, v24                               // 000000002944: D1CB0018 04622D14
	v_fma_f32 v24, v21, v23, v24                               // 00000000294C: D1CB0018 04622F15
	ds_write_b32 v16, v24                                      // 000000002954: D81A0000 00001810
	s_waitcnt lgkmcnt(0)                                       // 00000000295C: BF8CC07F
	s_mov_b64 exec, s[48:49]                                   // 000000002960: BEFE0130
	ds_read_b128 v[20:23], v18                                 // 000000002964: D9FE0000 14000012
	s_waitcnt lgkmcnt(0)                                       // 00000000296C: BF8CC07F
	ds_read_b128 v[24:27], v19                                 // 000000002970: D9FE0000 18000013
	s_waitcnt lgkmcnt(0)                                       // 000000002978: BF8CC07F
	v_add_f32_e32 v14, v20, v14                                // 00000000297C: 021C1D14
	v_add_f32_e32 v14, v21, v14                                // 000000002980: 021C1D15
	v_add_f32_e32 v14, v22, v14                                // 000000002984: 021C1D16
	v_add_f32_e32 v14, v23, v14                                // 000000002988: 021C1D17
	v_add_f32_e32 v14, v24, v14                                // 00000000298C: 021C1D18
	v_add_f32_e32 v14, v25, v14                                // 000000002990: 021C1D19
	v_add_f32_e32 v14, v26, v14                                // 000000002994: 021C1D1A
	v_add_f32_e32 v14, v27, v14                                // 000000002998: 021C1D1B
	s_mov_b64 exec, -1                                         // 00000000299C: BEFE01C1
	s_mul_i32 s31, s8, 2                                       // 0000000029A0: 921F8208
	s_lshl_b32 s31, s31, 3                                     // 0000000029A4: 8E1F831F
	v_add_u32_e32 v15, s31, v4                                 // 0000000029A8: 681E081F
	s_mul_i32 s31, s52, 2                                      // 0000000029AC: 921F8234
	s_lshl_b32 s31, s31, 3                                     // 0000000029B0: 8E1F831F
	v_add_u32_e32 v30, s31, v29                                // 0000000029B4: 683C3A1F
	v_and_b32_e32 v28, 7, v0                                   // 0000000029B8: 26380087
	v_cmp_eq_u32_e64 s[48:49], v28, 4                          // 0000000029BC: D0CA0030 0001091C
	v_mov_b32_e32 v10, 0                                       // 0000000029C4: 7E140280
	v_mov_b32_e32 v6, 0                                        // 0000000029C8: 7E0C0280
	v_mov_b32_e32 v11, 0                                       // 0000000029CC: 7E160280
	v_mov_b32_e32 v7, 0                                        // 0000000029D0: 7E0E0280
	v_mov_b32_e32 v12, 0                                       // 0000000029D4: 7E180280
	v_mov_b32_e32 v8, 0                                        // 0000000029D8: 7E100280
	v_mov_b32_e32 v13, 0                                       // 0000000029DC: 7E1A0280
	v_mov_b32_e32 v9, 0                                        // 0000000029E0: 7E120280
	s_mov_b64 exec, s[36:37]                                   // 0000000029E4: BEFE0124
	buffer_load_dwordx4 v[10:13], v30, s[20:23], 0 offen       // 0000000029E8: E05C1000 80050A1E
	buffer_load_dwordx4 v[6:9], v15, s[12:15], 0 offen         // 0000000029F0: E05C1000 8003060F
	s_mov_b64 exec, -1                                         // 0000000029F8: BEFE01C1
	v_add_u32_e32 v15, 0x80, v15                               // 0000000029FC: 681E1EFF 00000080
	v_add_u32_e32 v30, 0x80, v30                               // 000000002A04: 683C3CFF 00000080
	s_waitcnt vmcnt(0) expcnt(0) lgkmcnt(0)                    // 000000002A0C: BF8C0000
	s_barrier                                                  // 000000002A10: BF8A0000
	v_mov_b32_e32 v24, 0                                       // 000000002A14: 7E300280
	v_and_b32_e32 v20, 0xffff, v6                              // 000000002A18: 26280CFF 0000FFFF
	v_lshrrev_b32_e32 v21, 16, v6                              // 000000002A20: 202A0C90
	v_and_b32_e32 v22, 0xffff, v10                             // 000000002A24: 262C14FF 0000FFFF
	v_lshrrev_b32_e32 v23, 16, v10                             // 000000002A2C: 202E1490
	v_lshlrev_b32_e32 v20, 16, v20                             // 000000002A30: 24282890
	v_lshlrev_b32_e32 v22, 16, v22                             // 000000002A34: 242C2C90
	v_lshlrev_b32_e32 v21, 16, v21                             // 000000002A38: 242A2A90
	v_lshlrev_b32_e32 v23, 16, v23                             // 000000002A3C: 242E2E90
	v_fma_f32 v24, v20, v22, v24                               // 000000002A40: D1CB0018 04622D14
	v_fma_f32 v24, v21, v23, v24                               // 000000002A48: D1CB0018 04622F15
	v_and_b32_e32 v20, 0xffff, v7                              // 000000002A50: 26280EFF 0000FFFF
	v_lshrrev_b32_e32 v21, 16, v7                              // 000000002A58: 202A0E90
	v_and_b32_e32 v22, 0xffff, v11                             // 000000002A5C: 262C16FF 0000FFFF
	v_lshrrev_b32_e32 v23, 16, v11                             // 000000002A64: 202E1690
	v_lshlrev_b32_e32 v20, 16, v20                             // 000000002A68: 24282890
	v_lshlrev_b32_e32 v22, 16, v22                             // 000000002A6C: 242C2C90
	v_lshlrev_b32_e32 v21, 16, v21                             // 000000002A70: 242A2A90
	v_lshlrev_b32_e32 v23, 16, v23                             // 000000002A74: 242E2E90
	v_fma_f32 v24, v20, v22, v24                               // 000000002A78: D1CB0018 04622D14
	v_fma_f32 v24, v21, v23, v24                               // 000000002A80: D1CB0018 04622F15
	v_and_b32_e32 v20, 0xffff, v8                              // 000000002A88: 262810FF 0000FFFF
	v_lshrrev_b32_e32 v21, 16, v8                              // 000000002A90: 202A1090
	v_and_b32_e32 v22, 0xffff, v12                             // 000000002A94: 262C18FF 0000FFFF
	v_lshrrev_b32_e32 v23, 16, v12                             // 000000002A9C: 202E1890
	v_lshlrev_b32_e32 v20, 16, v20                             // 000000002AA0: 24282890
	v_lshlrev_b32_e32 v22, 16, v22                             // 000000002AA4: 242C2C90
	v_lshlrev_b32_e32 v21, 16, v21                             // 000000002AA8: 242A2A90
	v_lshlrev_b32_e32 v23, 16, v23                             // 000000002AAC: 242E2E90
	v_fma_f32 v24, v20, v22, v24                               // 000000002AB0: D1CB0018 04622D14
	v_fma_f32 v24, v21, v23, v24                               // 000000002AB8: D1CB0018 04622F15
	v_and_b32_e32 v20, 0xffff, v9                              // 000000002AC0: 262812FF 0000FFFF
	v_lshrrev_b32_e32 v21, 16, v9                              // 000000002AC8: 202A1290
	v_and_b32_e32 v22, 0xffff, v13                             // 000000002ACC: 262C1AFF 0000FFFF
	v_lshrrev_b32_e32 v23, 16, v13                             // 000000002AD4: 202E1A90
	v_lshlrev_b32_e32 v20, 16, v20                             // 000000002AD8: 24282890
	v_lshlrev_b32_e32 v22, 16, v22                             // 000000002ADC: 242C2C90
	v_lshlrev_b32_e32 v21, 16, v21                             // 000000002AE0: 242A2A90
	v_lshlrev_b32_e32 v23, 16, v23                             // 000000002AE4: 242E2E90
	v_fma_f32 v24, v20, v22, v24                               // 000000002AE8: D1CB0018 04622D14
	v_fma_f32 v24, v21, v23, v24                               // 000000002AF0: D1CB0018 04622F15
	ds_write_b32 v16, v24                                      // 000000002AF8: D81A0000 00001810
	s_waitcnt lgkmcnt(0)                                       // 000000002B00: BF8CC07F
	s_mov_b64 exec, s[48:49]                                   // 000000002B04: BEFE0130
	ds_read_b128 v[20:23], v18                                 // 000000002B08: D9FE0000 14000012
	s_waitcnt lgkmcnt(0)                                       // 000000002B10: BF8CC07F
	ds_read_b128 v[24:27], v19                                 // 000000002B14: D9FE0000 18000013
	s_waitcnt lgkmcnt(0)                                       // 000000002B1C: BF8CC07F
	v_add_f32_e32 v14, v20, v14                                // 000000002B20: 021C1D14
	v_add_f32_e32 v14, v21, v14                                // 000000002B24: 021C1D15
	v_add_f32_e32 v14, v22, v14                                // 000000002B28: 021C1D16
	v_add_f32_e32 v14, v23, v14                                // 000000002B2C: 021C1D17
	v_add_f32_e32 v14, v24, v14                                // 000000002B30: 021C1D18
	v_add_f32_e32 v14, v25, v14                                // 000000002B34: 021C1D19
	v_add_f32_e32 v14, v26, v14                                // 000000002B38: 021C1D1A
	v_add_f32_e32 v14, v27, v14                                // 000000002B3C: 021C1D1B
	s_mov_b64 exec, -1                                         // 000000002B40: BEFE01C1
	s_mul_i32 s31, s8, 3                                       // 000000002B44: 921F8308
	s_lshl_b32 s31, s31, 3                                     // 000000002B48: 8E1F831F
	v_add_u32_e32 v15, s31, v4                                 // 000000002B4C: 681E081F
	s_mul_i32 s31, s52, 3                                      // 000000002B50: 921F8334
	s_lshl_b32 s31, s31, 3                                     // 000000002B54: 8E1F831F
	v_add_u32_e32 v30, s31, v29                                // 000000002B58: 683C3A1F
	v_and_b32_e32 v28, 7, v0                                   // 000000002B5C: 26380087
	v_cmp_eq_u32_e64 s[48:49], v28, 6                          // 000000002B60: D0CA0030 00010D1C
	v_mov_b32_e32 v10, 0                                       // 000000002B68: 7E140280
	v_mov_b32_e32 v6, 0                                        // 000000002B6C: 7E0C0280
	v_mov_b32_e32 v11, 0                                       // 000000002B70: 7E160280
	v_mov_b32_e32 v7, 0                                        // 000000002B74: 7E0E0280
	v_mov_b32_e32 v12, 0                                       // 000000002B78: 7E180280
	v_mov_b32_e32 v8, 0                                        // 000000002B7C: 7E100280
	v_mov_b32_e32 v13, 0                                       // 000000002B80: 7E1A0280
	v_mov_b32_e32 v9, 0                                        // 000000002B84: 7E120280
	s_mov_b64 exec, s[36:37]                                   // 000000002B88: BEFE0124
	buffer_load_dwordx4 v[10:13], v30, s[20:23], 0 offen       // 000000002B8C: E05C1000 80050A1E
	buffer_load_dwordx4 v[6:9], v15, s[12:15], 0 offen         // 000000002B94: E05C1000 8003060F
	s_mov_b64 exec, -1                                         // 000000002B9C: BEFE01C1
	v_add_u32_e32 v15, 0x80, v15                               // 000000002BA0: 681E1EFF 00000080
	v_add_u32_e32 v30, 0x80, v30                               // 000000002BA8: 683C3CFF 00000080
	s_waitcnt vmcnt(0) expcnt(0) lgkmcnt(0)                    // 000000002BB0: BF8C0000
	s_barrier                                                  // 000000002BB4: BF8A0000
	v_mov_b32_e32 v24, 0                                       // 000000002BB8: 7E300280
	v_and_b32_e32 v20, 0xffff, v6                              // 000000002BBC: 26280CFF 0000FFFF
	v_lshrrev_b32_e32 v21, 16, v6                              // 000000002BC4: 202A0C90
	v_and_b32_e32 v22, 0xffff, v10                             // 000000002BC8: 262C14FF 0000FFFF
	v_lshrrev_b32_e32 v23, 16, v10                             // 000000002BD0: 202E1490
	v_lshlrev_b32_e32 v20, 16, v20                             // 000000002BD4: 24282890
	v_lshlrev_b32_e32 v22, 16, v22                             // 000000002BD8: 242C2C90
	v_lshlrev_b32_e32 v21, 16, v21                             // 000000002BDC: 242A2A90
	v_lshlrev_b32_e32 v23, 16, v23                             // 000000002BE0: 242E2E90
	v_fma_f32 v24, v20, v22, v24                               // 000000002BE4: D1CB0018 04622D14
	v_fma_f32 v24, v21, v23, v24                               // 000000002BEC: D1CB0018 04622F15
	v_and_b32_e32 v20, 0xffff, v7                              // 000000002BF4: 26280EFF 0000FFFF
	v_lshrrev_b32_e32 v21, 16, v7                              // 000000002BFC: 202A0E90
	v_and_b32_e32 v22, 0xffff, v11                             // 000000002C00: 262C16FF 0000FFFF
	v_lshrrev_b32_e32 v23, 16, v11                             // 000000002C08: 202E1690
	v_lshlrev_b32_e32 v20, 16, v20                             // 000000002C0C: 24282890
	v_lshlrev_b32_e32 v22, 16, v22                             // 000000002C10: 242C2C90
	v_lshlrev_b32_e32 v21, 16, v21                             // 000000002C14: 242A2A90
	v_lshlrev_b32_e32 v23, 16, v23                             // 000000002C18: 242E2E90
	v_fma_f32 v24, v20, v22, v24                               // 000000002C1C: D1CB0018 04622D14
	v_fma_f32 v24, v21, v23, v24                               // 000000002C24: D1CB0018 04622F15
	v_and_b32_e32 v20, 0xffff, v8                              // 000000002C2C: 262810FF 0000FFFF
	v_lshrrev_b32_e32 v21, 16, v8                              // 000000002C34: 202A1090
	v_and_b32_e32 v22, 0xffff, v12                             // 000000002C38: 262C18FF 0000FFFF
	v_lshrrev_b32_e32 v23, 16, v12                             // 000000002C40: 202E1890
	v_lshlrev_b32_e32 v20, 16, v20                             // 000000002C44: 24282890
	v_lshlrev_b32_e32 v22, 16, v22                             // 000000002C48: 242C2C90
	v_lshlrev_b32_e32 v21, 16, v21                             // 000000002C4C: 242A2A90
	v_lshlrev_b32_e32 v23, 16, v23                             // 000000002C50: 242E2E90
	v_fma_f32 v24, v20, v22, v24                               // 000000002C54: D1CB0018 04622D14
	v_fma_f32 v24, v21, v23, v24                               // 000000002C5C: D1CB0018 04622F15
	v_and_b32_e32 v20, 0xffff, v9                              // 000000002C64: 262812FF 0000FFFF
	v_lshrrev_b32_e32 v21, 16, v9                              // 000000002C6C: 202A1290
	v_and_b32_e32 v22, 0xffff, v13                             // 000000002C70: 262C1AFF 0000FFFF
	v_lshrrev_b32_e32 v23, 16, v13                             // 000000002C78: 202E1A90
	v_lshlrev_b32_e32 v20, 16, v20                             // 000000002C7C: 24282890
	v_lshlrev_b32_e32 v22, 16, v22                             // 000000002C80: 242C2C90
	v_lshlrev_b32_e32 v21, 16, v21                             // 000000002C84: 242A2A90
	v_lshlrev_b32_e32 v23, 16, v23                             // 000000002C88: 242E2E90
	v_fma_f32 v24, v20, v22, v24                               // 000000002C8C: D1CB0018 04622D14
	v_fma_f32 v24, v21, v23, v24                               // 000000002C94: D1CB0018 04622F15
	ds_write_b32 v16, v24                                      // 000000002C9C: D81A0000 00001810
	s_waitcnt lgkmcnt(0)                                       // 000000002CA4: BF8CC07F
	s_mov_b64 exec, s[48:49]                                   // 000000002CA8: BEFE0130
	ds_read_b128 v[20:23], v18                                 // 000000002CAC: D9FE0000 14000012
	s_waitcnt lgkmcnt(0)                                       // 000000002CB4: BF8CC07F
	ds_read_b128 v[24:27], v19                                 // 000000002CB8: D9FE0000 18000013
	s_waitcnt lgkmcnt(0)                                       // 000000002CC0: BF8CC07F
	v_add_f32_e32 v14, v20, v14                                // 000000002CC4: 021C1D14
	v_add_f32_e32 v14, v21, v14                                // 000000002CC8: 021C1D15
	v_add_f32_e32 v14, v22, v14                                // 000000002CCC: 021C1D16
	v_add_f32_e32 v14, v23, v14                                // 000000002CD0: 021C1D17
	v_add_f32_e32 v14, v24, v14                                // 000000002CD4: 021C1D18
	v_add_f32_e32 v14, v25, v14                                // 000000002CD8: 021C1D19
	v_add_f32_e32 v14, v26, v14                                // 000000002CDC: 021C1D1A
	v_add_f32_e32 v14, v27, v14                                // 000000002CE0: 021C1D1B
	s_mov_b64 exec, -1                                         // 000000002CE4: BEFE01C1
	s_mov_b64 exec, s[38:39]                                   // 000000002CE8: BEFE0126
	buffer_store_dword v14, v5, s[16:19], 0 offen              // 000000002CEC: E0701000 80040E05
	s_waitcnt vmcnt(0) expcnt(0) lgkmcnt(0)                    // 000000002CF4: BF8C0000
	s_endpgm                                                   // 000000002CF8: BF810000
